;; amdgpu-corpus repo=ROCm/bitsandbytes kind=harvested arch=n/a opt=n/a
	.text
	.amdgcn_target "amdgcn-amd-amdhsa--gfx942"
	.amdhsa_code_object_version 6
	.protected	_Z5kfuncIhLi0EEvPT_S1_S0_l ; -- Begin function _Z5kfuncIhLi0EEvPT_S1_S0_l
	.globl	_Z5kfuncIhLi0EEvPT_S1_S0_l
	.p2align	8
	.type	_Z5kfuncIhLi0EEvPT_S1_S0_l,@function
_Z5kfuncIhLi0EEvPT_S1_S0_l:             ; @_Z5kfuncIhLi0EEvPT_S1_S0_l
; %bb.0:
	s_load_dword s3, s[0:1], 0x2c
	s_load_dwordx2 s[4:5], s[0:1], 0x18
	s_add_u32 s6, s0, 32
	s_addc_u32 s7, s1, 0
	v_mov_b32_e32 v1, 0
	s_waitcnt lgkmcnt(0)
	s_and_b32 s8, s3, 0xffff
	s_mul_i32 s2, s2, s8
	v_add_u32_e32 v0, s2, v0
	v_cmp_gt_i64_e32 vcc, s[4:5], v[0:1]
	s_and_saveexec_b64 s[2:3], vcc
	s_cbranch_execz .LBB7_3
; %bb.1:
	s_load_dword s9, s[6:7], 0x0
	s_load_dword s10, s[0:1], 0x10
	s_load_dwordx2 s[2:3], s[0:1], 0x0
	s_mov_b32 s1, 0
	s_mov_b64 s[6:7], 0
	s_waitcnt lgkmcnt(0)
	s_mul_i32 s0, s9, s8
	v_mov_b32_e32 v2, s10
.LBB7_2:                                ; =>This Inner Loop Header: Depth=1
	v_lshl_add_u64 v[4:5], s[2:3], 0, v[0:1]
	v_lshl_add_u64 v[0:1], v[0:1], 0, s[0:1]
	v_cmp_le_i64_e32 vcc, s[4:5], v[0:1]
	s_or_b64 s[6:7], vcc, s[6:7]
	global_store_byte v[4:5], v2, off
	s_andn2_b64 exec, exec, s[6:7]
	s_cbranch_execnz .LBB7_2
.LBB7_3:
	s_endpgm
	.section	.rodata,"a",@progbits
	.p2align	6, 0x0
	.amdhsa_kernel _Z5kfuncIhLi0EEvPT_S1_S0_l
		.amdhsa_group_segment_fixed_size 0
		.amdhsa_private_segment_fixed_size 0
		.amdhsa_kernarg_size 288
		.amdhsa_user_sgpr_count 2
		.amdhsa_user_sgpr_dispatch_ptr 0
		.amdhsa_user_sgpr_queue_ptr 0
		.amdhsa_user_sgpr_kernarg_segment_ptr 1
		.amdhsa_user_sgpr_dispatch_id 0
		.amdhsa_user_sgpr_kernarg_preload_length 0
		.amdhsa_user_sgpr_kernarg_preload_offset 0
		.amdhsa_user_sgpr_private_segment_size 0
		.amdhsa_uses_dynamic_stack 0
		.amdhsa_enable_private_segment 0
		.amdhsa_system_sgpr_workgroup_id_x 1
		.amdhsa_system_sgpr_workgroup_id_y 0
		.amdhsa_system_sgpr_workgroup_id_z 0
		.amdhsa_system_sgpr_workgroup_info 0
		.amdhsa_system_vgpr_workitem_id 0
		.amdhsa_next_free_vgpr 6
		.amdhsa_next_free_sgpr 11
		.amdhsa_accum_offset 8
		.amdhsa_reserve_vcc 1
		.amdhsa_float_round_mode_32 0
		.amdhsa_float_round_mode_16_64 0
		.amdhsa_float_denorm_mode_32 3
		.amdhsa_float_denorm_mode_16_64 3
		.amdhsa_dx10_clamp 1
		.amdhsa_ieee_mode 1
		.amdhsa_fp16_overflow 0
		.amdhsa_tg_split 0
		.amdhsa_exception_fp_ieee_invalid_op 0
		.amdhsa_exception_fp_denorm_src 0
		.amdhsa_exception_fp_ieee_div_zero 0
		.amdhsa_exception_fp_ieee_overflow 0
		.amdhsa_exception_fp_ieee_underflow 0
		.amdhsa_exception_fp_ieee_inexact 0
		.amdhsa_exception_int_div_zero 0
	.end_amdhsa_kernel
	.section	.text._Z5kfuncIhLi0EEvPT_S1_S0_l,"axG",@progbits,_Z5kfuncIhLi0EEvPT_S1_S0_l,comdat
.Lfunc_end7:
	.size	_Z5kfuncIhLi0EEvPT_S1_S0_l, .Lfunc_end7-_Z5kfuncIhLi0EEvPT_S1_S0_l
                                        ; -- End function
	.section	.AMDGPU.csdata,"",@progbits
; Kernel info:
; codeLenInByte = 148
; NumSgprs: 17
; NumVgprs: 6
; NumAgprs: 0
; TotalNumVgprs: 6
; ScratchSize: 0
; MemoryBound: 0
; FloatMode: 240
; IeeeMode: 1
; LDSByteSize: 0 bytes/workgroup (compile time only)
; SGPRBlocks: 2
; VGPRBlocks: 0
; NumSGPRsForWavesPerEU: 17
; NumVGPRsForWavesPerEU: 6
; AccumOffset: 8
; Occupancy: 8
; WaveLimiterHint : 0
; COMPUTE_PGM_RSRC2:SCRATCH_EN: 0
; COMPUTE_PGM_RSRC2:USER_SGPR: 2
; COMPUTE_PGM_RSRC2:TRAP_HANDLER: 0
; COMPUTE_PGM_RSRC2:TGID_X_EN: 1
; COMPUTE_PGM_RSRC2:TGID_Y_EN: 0
; COMPUTE_PGM_RSRC2:TGID_Z_EN: 0
; COMPUTE_PGM_RSRC2:TIDIG_COMP_CNT: 0
; COMPUTE_PGM_RSRC3_GFX90A:ACCUM_OFFSET: 1
; COMPUTE_PGM_RSRC3_GFX90A:TG_SPLIT: 0
	.section	.text._Z5kfuncIfLi1EEvPT_S1_S0_l,"axG",@progbits,_Z5kfuncIfLi1EEvPT_S1_S0_l,comdat
